;; amdgpu-corpus repo=zjin-lcf/HeCBench kind=compiled arch=gfx950 opt=O3
	.amdgcn_target "amdgcn-amd-amdhsa--gfx950"
	.amdhsa_code_object_version 6
	.text
	.protected	_Z8svd3_SOAPKfPfi       ; -- Begin function _Z8svd3_SOAPKfPfi
	.globl	_Z8svd3_SOAPKfPfi
	.p2align	8
	.type	_Z8svd3_SOAPKfPfi,@function
_Z8svd3_SOAPKfPfi:                      ; @_Z8svd3_SOAPKfPfi
; %bb.0:
	s_load_dword s3, s[0:1], 0x24
	s_load_dword s8, s[0:1], 0x10
	s_waitcnt lgkmcnt(0)
	s_and_b32 s3, s3, 0xffff
	s_mul_i32 s2, s2, s3
	v_add_u32_e32 v0, s2, v0
	v_cmp_gt_i32_e32 vcc, s8, v0
	s_and_saveexec_b64 s[2:3], vcc
	s_cbranch_execz .LBB0_4
; %bb.1:
	s_load_dwordx4 s[4:7], s[0:1], 0x0
	v_add_u32_e32 v10, s8, v0
	v_add_u32_e32 v2, s8, v10
	v_add_u32_e32 v12, s8, v2
	v_add_u32_e32 v4, s8, v12
	v_ashrrev_i32_e32 v13, 31, v12
	v_add_u32_e32 v30, s8, v4
	s_waitcnt lgkmcnt(0)
	v_lshl_add_u64 v[6:7], v[12:13], 2, s[4:5]
	v_ashrrev_i32_e32 v5, 31, v4
	v_ashrrev_i32_e32 v31, 31, v30
	v_lshl_add_u64 v[22:23], v[4:5], 2, s[4:5]
	v_lshl_add_u64 v[24:25], v[30:31], 2, s[4:5]
	global_load_dword v20, v[6:7], off
	global_load_dword v19, v[22:23], off
	;; [unrolled: 1-line block ×3, first 2 shown]
	v_add_u32_e32 v6, s8, v30
	v_ashrrev_i32_e32 v1, 31, v0
	v_add_u32_e32 v32, s8, v6
	s_ashr_i32 s9, s8, 31
	v_lshl_add_u64 v[8:9], v[0:1], 2, s[4:5]
	v_ashrrev_i32_e32 v3, 31, v2
	v_ashrrev_i32_e32 v7, 31, v6
	;; [unrolled: 1-line block ×3, first 2 shown]
	v_lshl_add_u64 v[14:15], s[8:9], 2, v[8:9]
	v_lshl_add_u64 v[16:17], v[2:3], 2, s[4:5]
	;; [unrolled: 1-line block ×3, first 2 shown]
	global_load_dword v24, v[8:9], off
	global_load_dword v23, v[14:15], off
	global_load_dword v22, v[16:17], off
	global_load_dword v28, v[26:27], off
	v_lshl_add_u64 v[8:9], v[32:33], 2, s[4:5]
	global_load_dword v27, v[8:9], off
	v_add_u32_e32 v8, s8, v32
	v_ashrrev_i32_e32 v9, 31, v8
	v_lshl_add_u64 v[14:15], v[8:9], 2, s[4:5]
	global_load_dword v34, v[14:15], off
	v_mov_b32_e32 v36, 0
	v_mov_b32_e32 v37, 1.0
	s_mov_b32 s2, 4
	s_mov_b32 s3, 0x1e3ce508
	;; [unrolled: 1-line block ×3, first 2 shown]
	v_mov_b32_e32 v11, 0x260
	v_mov_b32_e32 v15, 0.5
	v_mov_b32_e32 v50, 0x3ec3ef15
	v_mov_b32_e32 v51, 0x3f6c835f
	v_mov_b32_e32 v40, v36
	v_mov_b32_e32 v41, v36
	s_waitcnt vmcnt(6)
	v_pk_mul_f32 v[16:17], v[20:21], v[18:19] op_sel_hi:[0,1]
	v_mov_b32_e32 v21, v19
	v_pk_mul_f32 v[42:43], v[18:19], v[18:19] op_sel_hi:[1,0]
	v_pk_mul_f32 v[44:45], v[20:21], v[20:21]
	v_mov_b32_e32 v38, v18
	v_mov_b32_e32 v39, v18
	s_waitcnt vmcnt(3)
	v_pk_fma_f32 v[16:17], v[24:25], v[22:23], v[16:17] op_sel_hi:[0,1,1]
	v_mov_b32_e32 v25, v23
	s_waitcnt vmcnt(2)
	v_mov_b32_e32 v29, v28
	v_mov_b32_e32 v46, v28
	v_pk_fma_f32 v[48:49], v[22:23], v[22:23], v[42:43] op_sel_hi:[1,0,1]
	v_pk_fma_f32 v[42:43], v[24:25], v[24:25], v[44:45]
	s_waitcnt vmcnt(1)
	v_mov_b32_e32 v47, v27
	s_waitcnt vmcnt(0)
	v_mov_b32_e32 v26, v34
	v_mov_b32_e32 v35, v34
	v_pk_fma_f32 v[42:43], v[46:47], v[46:47], v[42:43]
	v_pk_fma_f32 v[16:17], v[28:29], v[26:27], v[16:17] op_sel_hi:[0,1,1]
	v_pk_fma_f32 v[48:49], v[26:27], v[34:35], v[48:49] op_sel_hi:[1,0,1]
.LBB0_2:                                ; =>This Inner Loop Header: Depth=1
	v_mul_f32_e32 v21, 0.5, v17
	v_mov_b32_e32 v14, v43
	v_pk_add_f32 v[44:45], v[42:43], v[14:15] neg_lo:[0,1] neg_hi:[0,1]
	v_mul_f32_e32 v14, v21, v21
	v_cmp_nle_f32_e32 vcc, s3, v14
	v_mov_b32_e32 v61, v49
	v_mov_b32_e32 v60, v43
	v_cndmask_b32_e64 v47, v21, 0, vcc
	v_cndmask_b32_e64 v46, v44, 1.0, vcc
	v_pk_mul_f32 v[52:53], v[46:47], v[46:47]
	s_add_i32 s2, s2, -1
	v_add_f32_e32 v14, v53, v52
	v_mul_f32_e32 v21, 0x4f800000, v14
	v_cmp_gt_f32_e32 vcc, s4, v14
	s_cmp_lg_u32 s2, 0
	s_nop 0
	v_cndmask_b32_e32 v14, v14, v21, vcc
	v_sqrt_f32_e32 v21, v14
	s_nop 0
	v_add_u32_e32 v26, -1, v21
	v_fma_f32 v54, -v26, v21, v14
	v_cmp_ge_f32_e64 s[0:1], 0, v54
	v_add_u32_e32 v54, 1, v21
	s_nop 0
	v_cndmask_b32_e64 v26, v21, v26, s[0:1]
	v_fma_f32 v21, -v54, v21, v14
	v_cmp_lt_f32_e64 s[0:1], 0, v21
	s_nop 1
	v_cndmask_b32_e64 v21, v26, v54, s[0:1]
	v_mul_f32_e32 v26, 0x37800000, v21
	v_cndmask_b32_e32 v21, v21, v26, vcc
	v_cmp_class_f32_e32 vcc, v14, v11
	v_pk_add_f32 v[54:55], v[16:17], v[16:17]
	s_nop 0
	v_cndmask_b32_e32 v14, v21, v14, vcc
	v_div_scale_f32 v21, s[0:1], v14, v14, 1.0
	v_rcp_f32_e32 v26, v21
	s_nop 0
	v_fma_f32 v54, -v21, v26, 1.0
	v_fmac_f32_e32 v26, v54, v26
	v_div_scale_f32 v54, vcc, 1.0, v14, 1.0
	v_mul_f32_e32 v56, v54, v26
	v_fma_f32 v57, -v21, v56, v54
	v_fmac_f32_e32 v56, v57, v26
	v_fma_f32 v21, -v21, v56, v54
	v_div_fmas_f32 v21, v21, v26, v56
	v_div_fixup_f32 v14, v21, v14, 1.0
	v_pk_mul_f32 v[46:47], v[46:47], v[14:15] op_sel_hi:[1,0]
	v_mul_f32_e32 v14, 0x40ba827a, v53
	v_cmp_nle_f32_e32 vcc, v52, v14
	s_nop 1
	v_cndmask_b32_e32 v53, v50, v47, vcc
	v_cndmask_b32_e32 v52, v51, v46, vcc
	v_mov_b32_e32 v14, v53
	v_pk_mul_f32 v[46:47], v[52:53], v[52:53]
	v_pk_mul_f32 v[58:59], v[52:53], v[14:15]
	v_mov_b32_e32 v63, v46
	v_mov_b32_e32 v59, v47
	;; [unrolled: 1-line block ×3, first 2 shown]
	v_pk_fma_f32 v[56:57], v[52:53], v[52:53], v[46:47] op_sel:[0,0,1] op_sel_hi:[1,1,0] neg_lo:[0,0,1] neg_hi:[0,0,1]
	v_pk_add_f32 v[58:59], v[58:59], v[62:63]
	s_nop 0
	v_pk_mul_f32 v[46:47], v[48:49], v[58:59] op_sel:[0,1] op_sel_hi:[1,0]
	v_mov_b32_e32 v48, v56
	v_mov_b32_e32 v49, v58
	v_pk_mul_f32 v[62:63], v[48:49], v[48:49]
	v_mov_b32_e32 v65, v59
	v_mov_b32_e32 v64, v62
	v_pk_mul_f32 v[60:61], v[60:61], v[64:65]
	v_mul_f32_e32 v14, v43, v63
	v_pk_mov_b32 v[64:65], v[60:61], v[16:17] op_sel:[1,0]
	v_pk_fma_f32 v[66:67], v[42:43], v[62:63], v[14:15] op_sel_hi:[1,1,0]
	v_pk_mul_f32 v[64:65], v[58:59], v[64:65]
	v_pk_fma_f32 v[42:43], v[42:43], v[62:63], v[60:61] op_sel:[0,1,0] op_sel_hi:[1,0,1]
	v_pk_fma_f32 v[68:69], v[56:57], v[64:65], v[64:65] op_sel:[0,1,0] op_sel_hi:[1,0,1]
	v_pk_mul_f32 v[60:61], v[60:61], v[56:57] op_sel_hi:[1,0]
	v_pk_mul_f32 v[56:57], v[56:57], v[58:59]
	v_pk_mul_f32 v[46:47], v[58:59], v[46:47] op_sel:[1,0] op_sel_hi:[0,1]
	v_mov_b32_e32 v43, v61
	v_mov_b32_e32 v64, v55
	v_mov_b32_e32 v54, v56
	v_mov_b32_e32 v55, v58
	v_pk_fma_f32 v[42:43], v[64:65], v[54:55], v[42:43] neg_lo:[1,0,0] neg_hi:[1,0,0]
	v_mov_b32_e32 v14, v46
	v_pk_fma_f32 v[58:59], v[64:65], v[54:55], v[66:67]
	v_pk_mul_f32 v[54:55], v[42:43], v[14:15]
	v_pk_add_f32 v[60:61], v[42:43], v[14:15] neg_lo:[0,1] neg_hi:[0,1]
	v_mul_f32_e32 v14, v55, v55
	v_cmp_nle_f32_e32 vcc, s3, v14
	v_pk_fma_f32 v[48:49], v[48:49], v[48:49], v[62:63] op_sel_hi:[1,1,0] neg_lo:[1,0,0] neg_hi:[1,0,0]
	v_mov_b32_e32 v16, v53
	v_cndmask_b32_e64 v55, v55, 0, vcc
	v_cndmask_b32_e64 v54, v60, 1.0, vcc
	v_pk_mul_f32 v[62:63], v[54:55], v[54:55]
	v_pk_mul_f32 v[64:65], v[40:41], v[16:17] op_sel_hi:[1,0]
	v_add_f32_e32 v14, v63, v62
	v_mul_f32_e32 v21, 0x4f800000, v14
	v_cmp_gt_f32_e32 vcc, s4, v14
	v_pk_mov_b32 v[66:67], v[36:37], v[40:41] op_sel:[1,0]
	v_pk_mov_b32 v[40:41], v[40:41], v[36:37] op_sel:[1,0]
	v_cndmask_b32_e32 v14, v14, v21, vcc
	v_sqrt_f32_e32 v21, v14
	v_pk_mul_f32 v[66:67], v[66:67], v[52:53] op_sel:[0,1] op_sel_hi:[1,0]
	v_add_u32_e32 v16, -1, v21
	v_fma_f32 v26, -v16, v21, v14
	v_cmp_ge_f32_e64 s[0:1], 0, v26
	v_add_u32_e32 v26, 1, v21
	v_pk_fma_f32 v[66:67], v[40:41], v[52:53], v[66:67]
	v_cndmask_b32_e64 v16, v21, v16, s[0:1]
	v_fma_f32 v21, -v26, v21, v14
	v_cmp_lt_f32_e64 s[0:1], 0, v21
	v_pk_fma_f32 v[52:53], v[36:37], v[52:53], v[64:65] op_sel_hi:[1,0,1] neg_lo:[0,0,1] neg_hi:[0,0,1]
	s_nop 0
	v_cndmask_b32_e64 v16, v16, v26, s[0:1]
	v_mul_f32_e32 v21, 0x37800000, v16
	v_cndmask_b32_e32 v16, v16, v21, vcc
	v_cmp_class_f32_e32 vcc, v14, v11
	s_nop 1
	v_cndmask_b32_e32 v14, v16, v14, vcc
	v_div_scale_f32 v16, s[0:1], v14, v14, 1.0
	v_rcp_f32_e32 v21, v16
	s_nop 0
	v_fma_f32 v26, -v16, v21, 1.0
	v_fmac_f32_e32 v21, v26, v21
	v_div_scale_f32 v26, vcc, 1.0, v14, 1.0
	v_mul_f32_e32 v36, v26, v21
	v_fma_f32 v37, -v16, v36, v26
	v_fmac_f32_e32 v36, v37, v21
	v_fma_f32 v16, -v16, v36, v26
	v_div_fmas_f32 v16, v16, v21, v36
	v_div_fixup_f32 v14, v16, v14, 1.0
	v_pk_mul_f32 v[36:37], v[54:55], v[14:15] op_sel_hi:[1,0]
	v_mul_f32_e32 v14, 0x40ba827a, v63
	v_cmp_nle_f32_e32 vcc, v62, v14
	s_nop 1
	v_cndmask_b32_e32 v55, v50, v37, vcc
	v_cndmask_b32_e32 v54, v51, v36, vcc
	v_pk_mov_b32 v[36:37], v[54:55], v[44:45] op_sel:[1,0]
	v_pk_mov_b32 v[40:41], v[54:55], v[56:57] op_sel:[1,0]
	v_mov_b32_e32 v26, v55
	v_pk_mul_f32 v[36:37], v[36:37], v[40:41]
	v_mov_b32_e32 v16, v54
	v_mov_b32_e32 v48, v54
	v_pk_mul_f32 v[40:41], v[54:55], v[54:55]
	v_pk_mul_f32 v[44:45], v[54:55], v[26:27]
	v_pk_fma_f32 v[16:17], v[16:17], v[48:49], v[36:37] neg_lo:[0,0,1] neg_hi:[0,0,1]
	v_mov_b32_e32 v48, v44
	v_mov_b32_e32 v49, v36
	;; [unrolled: 1-line block ×4, first 2 shown]
	v_pk_mov_b32 v[44:45], v[42:43], v[44:45] op_sel:[1,0]
	v_pk_add_f32 v[40:41], v[48:49], v[36:37]
	v_pk_add_f32 v[44:45], v[44:45], v[44:45]
	v_pk_mul_f32 v[36:37], v[58:59], v[40:41] op_sel:[0,1] op_sel_hi:[1,0]
	v_mov_b32_e32 v58, v16
	v_mov_b32_e32 v59, v45
	v_pk_mul_f32 v[62:63], v[58:59], v[58:59]
	v_pk_mul_f32 v[36:37], v[40:41], v[36:37] op_sel:[1,0] op_sel_hi:[0,1]
	v_mov_b32_e32 v48, v42
	v_mov_b32_e32 v49, v68
	v_pk_mul_f32 v[56:57], v[16:17], v[40:41]
	v_mov_b32_e32 v40, v63
	v_pk_mul_f32 v[40:41], v[48:49], v[40:41]
	v_pk_mov_b32 v[48:49], v[44:45], v[16:17] op_sel:[1,0]
	v_mov_b32_e32 v64, v41
	v_mov_b32_e32 v65, v57
	v_mul_f32_e32 v26, v16, v57
	v_pk_mul_f32 v[16:17], v[16:17], v[40:41] op_sel_hi:[0,1]
	v_pk_fma_f32 v[40:41], v[46:47], v[62:63], v[40:41]
	v_pk_fma_f32 v[48:49], v[48:49], v[64:65], v[26:27] op_sel_hi:[1,1,0]
	v_mov_b32_e32 v64, v42
	v_mov_b32_e32 v65, v46
	v_mul_f32_e32 v26, v46, v63
	v_mov_b32_e32 v41, v17
	v_pk_fma_f32 v[16:17], v[58:59], v[58:59], v[62:63] op_sel:[0,0,1] op_sel_hi:[1,1,0] neg_lo:[0,0,1] neg_hi:[0,0,1]
	v_pk_fma_f32 v[64:65], v[64:65], v[62:63], v[26:27] op_sel_hi:[1,1,0]
	v_pk_mov_b32 v[58:59], v[42:43], v[60:61] op_sel:[1,0]
	v_mov_b32_e32 v17, v56
	v_mul_f32_e32 v26, v43, v16
	v_pk_fma_f32 v[40:41], v[44:45], v[56:57], v[40:41] neg_lo:[1,0,0] neg_hi:[1,0,0]
	v_mov_b32_e32 v37, v15
	v_pk_fma_f32 v[16:17], v[58:59], v[16:17], v[26:27] op_sel_hi:[1,1,0] neg_lo:[1,0,0] neg_hi:[1,0,0]
	v_pk_mul_f32 v[42:43], v[40:41], v[36:37]
	v_pk_mul_f32 v[46:47], v[44:45], v[56:57]
	v_mul_f32_e32 v16, v43, v43
	v_pk_add_f32 v[44:45], v[40:41], v[36:37] neg_lo:[0,1] neg_hi:[0,1]
	v_cmp_nle_f32_e32 vcc, s3, v16
	v_mov_b32_e32 v14, v55
	v_pk_mov_b32 v[58:59], v[66:67], v[52:53] op_sel:[1,0]
	v_cndmask_b32_e64 v43, v43, 0, vcc
	v_cndmask_b32_e64 v42, v44, 1.0, vcc
	v_pk_mul_f32 v[56:57], v[42:43], v[42:43]
	v_pk_mul_f32 v[58:59], v[58:59], v[14:15] op_sel_hi:[1,0]
	v_add_f32_e32 v16, v57, v56
	v_mul_f32_e32 v21, 0x4f800000, v16
	v_cmp_gt_f32_e32 vcc, s4, v16
	v_pk_mul_f32 v[60:61], v[66:67], v[54:55] op_sel:[0,1] op_sel_hi:[1,0]
	v_pk_mov_b32 v[62:63], v[52:53], v[66:67] op_sel:[1,0]
	v_cndmask_b32_e32 v16, v16, v21, vcc
	v_sqrt_f32_e32 v21, v16
	v_pk_fma_f32 v[52:53], v[52:53], v[54:55], v[60:61]
	v_pk_fma_f32 v[54:55], v[62:63], v[54:55], v[58:59] op_sel_hi:[1,0,1] neg_lo:[0,0,1] neg_hi:[0,0,1]
	v_pk_add_f32 v[62:63], v[40:41], v[40:41]
	v_add_u32_e32 v14, -1, v21
	v_fma_f32 v26, -v14, v21, v16
	v_cmp_ge_f32_e64 s[0:1], 0, v26
	v_add_u32_e32 v26, 1, v21
	s_nop 0
	v_cndmask_b32_e64 v14, v21, v14, s[0:1]
	v_fma_f32 v21, -v26, v21, v16
	v_cmp_lt_f32_e64 s[0:1], 0, v21
	s_nop 1
	v_cndmask_b32_e64 v14, v14, v26, s[0:1]
	v_mul_f32_e32 v21, 0x37800000, v14
	v_cndmask_b32_e32 v14, v14, v21, vcc
	v_cmp_class_f32_e32 vcc, v16, v11
	s_nop 1
	v_cndmask_b32_e32 v14, v14, v16, vcc
	v_div_scale_f32 v16, s[0:1], v14, v14, 1.0
	v_rcp_f32_e32 v21, v16
	s_nop 0
	v_fma_f32 v26, -v16, v21, 1.0
	v_fmac_f32_e32 v21, v26, v21
	v_div_scale_f32 v26, vcc, 1.0, v14, 1.0
	v_mul_f32_e32 v37, v26, v21
	v_fma_f32 v45, -v16, v37, v26
	v_fmac_f32_e32 v37, v45, v21
	v_fma_f32 v16, -v16, v37, v26
	v_div_fmas_f32 v16, v16, v21, v37
	v_div_fixup_f32 v14, v16, v14, 1.0
	v_pk_mul_f32 v[42:43], v[42:43], v[14:15] op_sel_hi:[1,0]
	v_mul_f32_e32 v14, 0x40ba827a, v57
	v_cmp_nle_f32_e32 vcc, v56, v14
	v_mov_b32_e32 v37, v17
	s_nop 0
	v_cndmask_b32_e32 v57, v50, v43, vcc
	v_cndmask_b32_e32 v56, v51, v42, vcc
	v_mov_b32_e32 v14, v57
	v_pk_mul_f32 v[58:59], v[56:57], v[56:57]
	v_pk_mul_f32 v[60:61], v[56:57], v[14:15]
	v_mov_b32_e32 v47, v59
	v_mov_b32_e32 v65, v58
	;; [unrolled: 1-line block ×4, first 2 shown]
	v_pk_mov_b32 v[58:59], v[58:59], v[60:61] op_sel:[1,0]
	v_pk_add_f32 v[46:47], v[46:47], v[64:65]
	v_pk_add_f32 v[60:61], v[16:17], v[58:59] neg_lo:[0,1] neg_hi:[0,1]
	v_pk_add_f32 v[16:17], v[16:17], v[58:59]
	v_mov_b32_e32 v58, v60
	v_mov_b32_e32 v59, v17
	v_mul_f32_e32 v14, v46, v47
	v_pk_mul_f32 v[64:65], v[58:59], v[58:59]
	v_pk_mul_f32 v[48:49], v[48:49], v[46:47] op_sel:[0,1] op_sel_hi:[1,0]
	v_pk_mul_f32 v[42:43], v[46:47], v[14:15] op_sel_hi:[1,0]
	v_mov_b32_e32 v46, v65
	v_pk_mul_f32 v[46:47], v[36:37], v[46:47]
	v_pk_fma_f32 v[58:59], v[58:59], v[58:59], v[64:65] op_sel:[0,0,1] op_sel_hi:[1,1,0] neg_lo:[0,0,1] neg_hi:[0,0,1]
	v_pk_fma_f32 v[66:67], v[40:41], v[64:65], v[46:47]
	v_pk_mul_f32 v[68:69], v[60:61], v[46:47] op_sel_hi:[0,1]
	v_mov_b32_e32 v67, v69
	v_pk_mul_f32 v[68:69], v[60:61], v[16:17] op_sel:[0,1] op_sel_hi:[1,0]
	v_mov_b32_e32 v45, v47
	v_mov_b32_e32 v16, v68
	v_pk_mov_b32 v[62:63], v[62:63], v[48:49] op_sel:[1,0]
	v_pk_mov_b32 v[70:71], v[40:41], v[48:49] op_sel:[1,0]
	v_mov_b32_e32 v59, v60
	v_pk_mul_f32 v[44:45], v[44:45], v[16:17]
	v_mov_b32_e32 v46, v52
	v_mov_b32_e32 v47, v55
	;; [unrolled: 1-line block ×3, first 2 shown]
	v_pk_fma_f32 v[48:49], v[16:17], v[62:63], v[66:67]
	v_pk_fma_f32 v[16:17], v[70:71], v[58:59], v[44:45] neg_lo:[0,0,1] neg_hi:[0,0,1]
	v_pk_mul_f32 v[44:45], v[54:55], v[56:57] op_sel:[0,1] op_sel_hi:[1,0]
	v_pk_mul_f32 v[46:47], v[46:47], v[14:15] op_sel_hi:[1,0]
	v_mov_b32_e32 v55, v53
	v_mul_f32_e32 v14, v36, v64
	v_pk_mul_f32 v[68:69], v[68:69], v[62:63]
	v_pk_fma_f32 v[44:45], v[52:53], v[56:57], v[44:45]
	v_pk_fma_f32 v[46:47], v[54:55], v[56:57], v[46:47] op_sel_hi:[1,0,1] neg_lo:[0,0,1] neg_hi:[0,0,1]
	v_fmac_f32_e32 v14, v40, v65
	v_sub_f32_e32 v42, v14, v68
	v_mov_b32_e32 v36, v44
	v_mov_b32_e32 v37, v46
	;; [unrolled: 1-line block ×4, first 2 shown]
	s_cbranch_scc1 .LBB0_2
; %bb.3:
	v_ashrrev_i32_e32 v11, 31, v10
	v_lshl_add_u64 v[14:15], v[12:13], 2, s[6:7]
	v_lshl_add_u64 v[12:13], v[30:31], 2, s[6:7]
	v_pk_mul_f32 v[30:31], v[46:47], v[46:47]
	v_lshl_add_u64 v[16:17], v[10:11], 2, s[6:7]
	v_lshl_add_u64 v[10:11], v[32:33], 2, s[6:7]
	v_pk_mul_f32 v[32:33], v[44:45], v[44:45]
	v_add_f32_e32 v21, v30, v31
	v_add_f32_e32 v21, v32, v21
	;; [unrolled: 1-line block ×3, first 2 shown]
	s_mov_b32 s4, 0xf800000
	v_mul_f32_e32 v26, 0x4f800000, v21
	v_cmp_gt_f32_e32 vcc, s4, v21
	v_mov_b32_e32 v48, 0x260
	v_mov_b32_e32 v51, v20
	v_cndmask_b32_e32 v26, v21, v26, vcc
	v_sqrt_f32_e32 v33, v26
	s_mov_b32 s5, 0x2b8cbccc
	v_add_u32_e32 v30, s8, v8
	v_add_u32_e32 v32, s8, v30
	v_add_u32_e32 v36, -1, v33
	v_fma_f32 v37, -v36, v33, v26
	v_cmp_ge_f32_e64 s[0:1], 0, v37
	v_add_u32_e32 v37, 1, v33
	v_ashrrev_i32_e32 v31, 31, v30
	v_cndmask_b32_e64 v36, v33, v36, s[0:1]
	v_fma_f32 v33, -v37, v33, v26
	v_cmp_lt_f32_e64 s[0:1], 0, v33
	v_lshl_add_u64 v[0:1], v[0:1], 2, s[6:7]
	v_lshl_add_u64 v[2:3], v[2:3], 2, s[6:7]
	v_cndmask_b32_e64 v33, v36, v37, s[0:1]
	v_mul_f32_e32 v36, 0x37800000, v33
	v_cndmask_b32_e32 v33, v33, v36, vcc
	v_cmp_class_f32_e32 vcc, v26, v48
	v_add_u32_e32 v36, s8, v32
	v_ashrrev_i32_e32 v37, 31, v36
	v_cndmask_b32_e32 v26, v33, v26, vcc
	v_div_scale_f32 v40, s[0:1], v26, v26, 1.0
	v_rcp_f32_e32 v41, v40
	v_ashrrev_i32_e32 v33, 31, v32
	v_lshl_add_u64 v[4:5], v[4:5], 2, s[6:7]
	v_lshl_add_u64 v[6:7], v[6:7], 2, s[6:7]
	v_fma_f32 v42, -v40, v41, 1.0
	v_fmac_f32_e32 v41, v42, v41
	v_div_scale_f32 v42, vcc, 1.0, v26, 1.0
	v_mul_f32_e32 v43, v42, v41
	v_fma_f32 v49, -v40, v43, v42
	v_fmac_f32_e32 v43, v49, v41
	v_fma_f32 v40, -v40, v43, v42
	v_div_fmas_f32 v40, v40, v41, v43
	v_div_fixup_f32 v26, v40, v26, 1.0
	v_mul_f32_e32 v40, 0.5, v26
	v_mul_f32_e32 v40, v26, v40
	v_mul_f32_e32 v40, v26, v40
	v_fmac_f32_e32 v26, 0.5, v26
	v_fma_f32 v26, -v21, v40, v26
	v_pk_mul_f32 v[42:43], v[46:47], v[26:27] op_sel_hi:[1,0]
	v_pk_mul_f32 v[40:41], v[44:45], v[26:27] op_sel_hi:[1,0]
	v_mul_f32_e32 v26, v43, v43
	v_pk_fma_f32 v[54:55], v[42:43], v[42:43], v[26:27] op_sel_hi:[1,1,0] neg_lo:[0,0,1] neg_hi:[0,0,1]
	v_pk_mul_f32 v[44:45], v[40:41], v[40:41]
	v_pk_fma_f32 v[56:57], v[40:41], v[40:41], v[54:55] neg_lo:[1,0,0] neg_hi:[1,0,0]
	v_pk_fma_f32 v[54:55], v[40:41], v[40:41], v[54:55]
	v_mov_b32_e32 v46, v43
	v_mov_b32_e32 v47, v45
	v_pk_mov_b32 v[54:55], v[42:43], v[54:55] op_sel:[1,0]
	v_pk_add_f32 v[52:53], v[40:41], v[40:41]
	v_pk_fma_f32 v[58:59], v[42:43], v[42:43], v[26:27] op_sel_hi:[1,1,0]
	v_pk_add_f32 v[60:61], v[54:55], v[46:47]
	v_mov_b32_e32 v50, v41
	v_pk_fma_f32 v[58:59], v[40:41], v[40:41], v[58:59] neg_lo:[1,0,0] neg_hi:[1,0,0]
	v_pk_add_f32 v[46:47], v[54:55], v[46:47] neg_lo:[0,1] neg_hi:[0,1]
	v_mov_b32_e32 v41, v42
	v_mov_b32_e32 v54, v60
	;; [unrolled: 1-line block ×3, first 2 shown]
	v_pk_add_f32 v[58:59], v[58:59], v[44:45] op_sel:[0,1] op_sel_hi:[1,0] neg_lo:[0,1] neg_hi:[0,1]
	v_pk_mul_f32 v[62:63], v[40:41], v[54:55]
	v_mov_b32_e32 v64, v40
	v_mov_b32_e32 v65, v62
	;; [unrolled: 1-line block ×4, first 2 shown]
	v_pk_fma_f32 v[54:55], v[40:41], v[54:55], v[62:63] op_sel:[0,0,1] op_sel_hi:[1,1,0]
	v_mov_b32_e32 v40, v42
	v_mov_b32_e32 v41, v58
	;; [unrolled: 1-line block ×5, first 2 shown]
	v_pk_add_f32 v[64:65], v[64:65], v[66:67] neg_lo:[0,1] neg_hi:[0,1]
	v_mov_b32_e32 v66, v42
	v_mov_b32_e32 v67, v19
	v_pk_mul_f32 v[62:63], v[40:41], v[62:63]
	v_mov_b32_e32 v40, v43
	v_mov_b32_e32 v41, v19
	v_pk_mov_b32 v[42:43], v[52:53], v[54:55] op_sel:[1,0]
	v_mov_b32_e32 v64, v52
	v_pk_mul_f32 v[60:61], v[66:67], v[60:61]
	v_pk_mul_f32 v[52:53], v[40:41], v[42:43]
	v_pk_fma_f32 v[66:67], v[40:41], v[42:43], v[62:63] neg_lo:[0,0,1] neg_hi:[0,0,1]
	v_pk_fma_f32 v[68:69], v[40:41], v[42:43], v[62:63]
	v_pk_fma_f32 v[42:43], v[50:51], v[64:65], v[60:61] neg_lo:[0,0,1] neg_hi:[0,0,1]
	v_pk_fma_f32 v[50:51], v[50:51], v[64:65], v[60:61]
	v_mov_b32_e32 v53, v45
	v_mov_b32_e32 v63, v56
	v_mov_b32_e32 v26, v27
	v_mov_b32_e32 v55, v47
	v_mov_b32_e32 v44, v22
	v_mov_b32_e32 v45, v24
	v_mov_b32_e32 v67, v54
	v_mov_b32_e32 v64, v50
	v_pk_add_f32 v[60:61], v[52:53], v[62:63]
	v_mov_b32_e32 v59, v65
	v_pk_mul_f32 v[52:53], v[26:27], v[54:55] op_sel_hi:[0,1]
	v_pk_mul_f32 v[56:57], v[22:23], v[66:67]
	v_pk_mul_f32 v[44:45], v[44:45], v[64:65]
	v_pk_fma_f32 v[52:53], v[28:29], v[58:59], v[52:53]
	v_mov_b32_e32 v67, v50
	v_mov_b32_e32 v63, v34
	v_pk_fma_f32 v[34:35], v[34:35], v[66:67], v[52:53]
	v_mov_b32_e32 v52, v57
	v_mov_b32_e32 v53, v45
	;; [unrolled: 1-line block ×4, first 2 shown]
	v_pk_fma_f32 v[44:45], v[24:25], v[58:59], v[52:53]
	v_mov_b32_e32 v52, v69
	v_mov_b32_e32 v53, v51
	v_pk_add_f32 v[44:45], v[56:57], v[44:45]
	v_pk_fma_f32 v[56:57], v[38:39], v[66:67], v[52:53]
	v_xor_b32_e32 v25, v58, v65
	v_pk_mul_f32 v[38:39], v[56:57], v[56:57]
	v_mov_b32_e32 v62, v28
	v_pk_fma_f32 v[38:39], v[44:45], v[44:45], v[38:39]
	v_xor_b32_e32 v46, v66, v50
	v_pk_fma_f32 v[52:53], v[34:35], v[34:35], v[38:39]
	v_xor_b32_e32 v21, v34, v35
	v_cmp_lt_f32_e32 vcc, v52, v53
	v_add_u32_e32 v40, s8, v36
	v_add_u32_e32 v28, s8, v40
	v_cndmask_b32_e32 v25, 0, v25, vcc
	v_xor_b32_e32 v51, v25, v58
	v_pk_mul_f32 v[58:59], v[62:63], v[60:61]
	v_cndmask_b32_e32 v46, 0, v46, vcc
	v_fma_f32 v26, v27, v42, v58
	v_xor_b32_e32 v27, v47, v54
	v_cndmask_b32_e32 v27, 0, v27, vcc
	v_xor_b32_e32 v54, v27, v54
	v_xor_b32_e32 v27, v27, v47
	;; [unrolled: 1-line block ×5, first 2 shown]
	v_cndmask_b32_e32 v21, 0, v21, vcc
	v_cndmask_b32_e32 v46, 0, v46, vcc
	v_xor_b32_e32 v49, v21, v34
	v_xor_b32_e32 v21, v21, v35
	v_xor_b32_e32 v25, v25, v65
	v_xor_b32_e32 v55, v46, v52
	v_xor_b32_e32 v53, v46, v53
	v_cndmask_b32_e64 v46, 1.0, -1.0, vcc
	v_mul_f32_e32 v52, v46, v21
	v_mul_f32_e32 v62, v46, v25
	v_mov_b32_e32 v21, v24
	v_mov_b32_e32 v24, v19
	;; [unrolled: 1-line block ×3, first 2 shown]
	v_pk_mul_f32 v[24:25], v[24:25], v[42:43] op_sel_hi:[1,0]
	v_mov_b32_e32 v19, v22
	v_pk_fma_f32 v[20:21], v[20:21], v[60:61], v[24:25] op_sel_hi:[1,0,1]
	v_mul_f32_e32 v63, v46, v27
	v_pk_fma_f32 v[18:19], v[18:19], v[60:61], v[20:21] op_sel:[0,1,0]
	v_xor_b32_e32 v23, v56, v57
	v_pk_mul_f32 v[20:21], v[18:19], v[18:19]
	v_cndmask_b32_e32 v25, 0, v23, vcc
	v_mov_b32_e32 v27, v21
	v_pk_mov_b32 v[20:21], v[58:59], v[20:21] op_sel:[1,0]
	v_xor_b32_e32 v22, v44, v45
	v_pk_add_f32 v[20:21], v[26:27], v[20:21]
	v_xor_b32_e32 v27, v25, v56
	v_fma_f32 v21, v20, v20, v21
	v_cndmask_b32_e32 v22, 0, v22, vcc
	v_xor_b32_e32 v43, v27, v18
	v_cmp_gt_f32_e32 vcc, v21, v55
	v_xor_b32_e32 v24, v49, v20
	v_xor_b32_e32 v64, v51, v60
	v_cndmask_b32_e32 v43, 0, v43, vcc
	v_xor_b32_e32 v56, v43, v18
	v_cndmask_b32_e32 v18, 0, v24, vcc
	v_xor_b32_e32 v65, v54, v42
	v_xor_b32_e32 v26, v22, v44
	;; [unrolled: 1-line block ×4, first 2 shown]
	v_cndmask_b32_e32 v18, 0, v64, vcc
	v_xor_b32_e32 v66, v47, v61
	v_xor_b32_e32 v23, v22, v45
	;; [unrolled: 1-line block ×6, first 2 shown]
	v_cndmask_b32_e32 v18, 0, v65, vcc
	v_cndmask_b32_e32 v25, 0, v25, vcc
	v_xor_b32_e32 v45, v18, v54
	v_xor_b32_e32 v42, v18, v42
	v_cndmask_b32_e32 v18, 0, v66, vcc
	v_pk_mul_f32 v[22:23], v[46:47], v[22:23] op_sel_hi:[0,1]
	v_xor_b32_e32 v19, v25, v19
	v_xor_b32_e32 v47, v18, v47
	;; [unrolled: 1-line block ×3, first 2 shown]
	v_cndmask_b32_e32 v18, v21, v55, vcc
	v_cndmask_b32_e64 v20, 1.0, -1.0, vcc
	v_mul_f32_e32 v51, v20, v24
	v_xor_b32_e32 v21, v19, v23
	v_xor_b32_e32 v24, v56, v22
	v_cmp_gt_f32_e64 s[0:1], v18, v53
	v_mul_f32_e32 v50, v46, v50
	v_mul_f32_e32 v46, v20, v44
	v_cndmask_b32_e64 v18, 0, v21, s[0:1]
	v_cndmask_b32_e64 v21, 0, v24, s[0:1]
	v_xor_b32_e32 v53, v18, v19
	v_xor_b32_e32 v19, v18, v23
	;; [unrolled: 1-line block ×5, first 2 shown]
	v_cndmask_b32_e64 v56, 0, v21, s[0:1]
	v_xor_b32_e32 v21, v57, v62
	v_xor_b32_e32 v23, v25, v26
	;; [unrolled: 1-line block ×3, first 2 shown]
	v_pk_mul_f32 v[22:23], v[20:21], v[22:23] op_sel_hi:[0,1]
	v_mul_f32_e32 v45, v20, v45
	v_mul_f32_e32 v44, v20, v47
	;; [unrolled: 1-line block ×3, first 2 shown]
	v_cmp_le_f32_e32 vcc, s5, v20
	v_xor_b32_e32 v58, v56, v49
	v_cndmask_b32_e64 v49, 0, v21, s[0:1]
	v_cndmask_b32_e32 v21, 0, v22, vcc
	v_max3_f32 v20, -v23, v23, s5
	v_pk_mul_f32 v[24:25], v[20:21], v[20:21]
	v_xor_b32_e32 v47, v49, v62
	v_add_f32_e32 v24, v24, v25
	v_mul_f32_e32 v25, 0x4f800000, v24
	v_cmp_gt_f32_e32 vcc, s4, v24
	v_xor_b32_e32 v57, v49, v57
	v_xor_b32_e32 v27, v42, v63
	v_cndmask_b32_e32 v25, v24, v25, vcc
	v_sqrt_f32_e32 v26, v25
	v_cndmask_b32_e64 v27, 0, v27, s[0:1]
	v_xor_b32_e32 v59, v27, v42
	v_add_u32_e32 v34, s8, v28
	v_add_u32_e32 v43, -1, v26
	v_fma_f32 v49, -v43, v26, v25
	v_cmp_ge_f32_e64 s[2:3], 0, v49
	v_add_u32_e32 v49, 1, v26
	v_add_u32_e32 v38, s8, v34
	v_cndmask_b32_e64 v43, v26, v43, s[2:3]
	v_fma_f32 v26, -v49, v26, v25
	v_cmp_lt_f32_e64 s[2:3], 0, v26
	v_ashrrev_i32_e32 v41, 31, v40
	v_ashrrev_i32_e32 v29, 31, v28
	v_cndmask_b32_e64 v26, v43, v49, s[2:3]
	v_mul_f32_e32 v43, 0x37800000, v26
	v_cndmask_b32_e32 v26, v26, v43, vcc
	v_cmp_class_f32_e32 vcc, v25, v48
	v_xor_b32_e32 v49, v27, v63
	v_xor_b32_e32 v27, v54, v50
	v_cndmask_b32_e32 v25, v26, v25, vcc
	v_div_scale_f32 v26, s[2:3], v25, v25, 1.0
	v_rcp_f32_e32 v43, v26
	v_cndmask_b32_e64 v27, 0, v27, s[0:1]
	v_xor_b32_e32 v50, v27, v50
	v_xor_b32_e32 v54, v27, v54
	v_fma_f32 v42, -v26, v43, 1.0
	v_fmac_f32_e32 v43, v42, v43
	v_div_scale_f32 v42, vcc, 1.0, v25, 1.0
	v_mul_f32_e32 v60, v42, v43
	v_fma_f32 v61, -v26, v60, v42
	v_fmac_f32_e32 v60, v61, v43
	v_fma_f32 v26, -v26, v60, v42
	v_div_fmas_f32 v26, v26, v43, v60
	v_div_fixup_f32 v25, v26, v25, 1.0
	v_mul_f32_e32 v26, 0.5, v25
	v_mul_f32_e32 v26, v25, v26
	v_mul_f32_e32 v26, v25, v26
	v_fmac_f32_e32 v25, 0.5, v25
	v_fma_f32 v25, -v24, v26, v25
	v_fmac_f32_e32 v20, v24, v25
	v_cmp_le_f32_e32 vcc, 0, v23
	v_cndmask_b32_e64 v60, 1.0, -1.0, s[0:1]
	v_mul_f32_e32 v61, v60, v53
	v_cndmask_b32_e32 v25, v21, v20, vcc
	v_cndmask_b32_e32 v24, v20, v21, vcc
	v_pk_mul_f32 v[20:21], v[24:25], v[24:25]
	v_mul_f32_e32 v55, v60, v55
	v_add_f32_e32 v20, v21, v20
	v_mul_f32_e32 v21, 0x4f800000, v20
	v_cmp_gt_f32_e32 vcc, s4, v20
	v_mul_f32_e32 v58, v60, v58
	v_mul_f32_e32 v54, v60, v54
	v_cndmask_b32_e32 v21, v20, v21, vcc
	v_sqrt_f32_e32 v26, v21
	v_ashrrev_i32_e32 v35, 31, v34
	v_ashrrev_i32_e32 v39, 31, v38
	v_lshl_add_u64 v[40:41], v[40:41], 2, s[6:7]
	v_add_u32_e32 v27, -1, v26
	v_fma_f32 v42, -v27, v26, v21
	v_cmp_ge_f32_e64 s[2:3], 0, v42
	v_add_u32_e32 v42, 1, v26
	v_lshl_add_u64 v[8:9], v[8:9], 2, s[6:7]
	v_cndmask_b32_e64 v27, v26, v27, s[2:3]
	v_fma_f32 v26, -v42, v26, v21
	v_cmp_lt_f32_e64 s[2:3], 0, v26
	v_lshl_add_u64 v[30:31], v[30:31], 2, s[6:7]
	v_lshl_add_u64 v[32:33], v[32:33], 2, s[6:7]
	v_cndmask_b32_e64 v26, v27, v42, s[2:3]
	v_mul_f32_e32 v27, 0x37800000, v26
	v_cndmask_b32_e32 v26, v26, v27, vcc
	v_cmp_class_f32_e32 vcc, v21, v48
	v_lshl_add_u64 v[36:37], v[36:37], 2, s[6:7]
	v_lshl_add_u64 v[28:29], v[28:29], 2, s[6:7]
	v_cndmask_b32_e32 v21, v26, v21, vcc
	v_div_scale_f32 v26, s[2:3], v21, v21, 1.0
	v_rcp_f32_e32 v27, v26
	v_lshl_add_u64 v[34:35], v[34:35], 2, s[6:7]
	v_fma_f32 v42, -v26, v27, 1.0
	v_fmac_f32_e32 v27, v42, v27
	v_div_scale_f32 v42, vcc, 1.0, v21, 1.0
	v_mul_f32_e32 v43, v42, v27
	v_fma_f32 v53, -v26, v43, v42
	v_fmac_f32_e32 v43, v53, v27
	v_fma_f32 v26, -v26, v43, v42
	v_div_fmas_f32 v26, v26, v27, v43
	v_div_fixup_f32 v21, v26, v21, 1.0
	v_mul_f32_e32 v26, 0.5, v21
	v_mul_f32_e32 v26, v21, v26
	v_mul_f32_e32 v26, v21, v26
	v_fmac_f32_e32 v21, 0.5, v21
	v_fma_f32 v20, -v20, v26, v21
	v_pk_mul_f32 v[24:25], v[24:25], v[20:21] op_sel_hi:[1,0]
	v_mul_f32_e32 v53, v60, v57
	v_pk_mul_f32 v[26:27], v[24:25], v[24:25] op_sel_hi:[0,1]
	v_pk_fma_f32 v[20:21], v[24:25], v[24:25], v[26:27] op_sel:[1,1,0] op_sel_hi:[0,1,1] neg_lo:[0,0,1] neg_hi:[0,0,1]
	v_pk_fma_f32 v[24:25], v[24:25], v[24:25], v[26:27] op_sel:[1,1,0] op_sel_hi:[0,1,1]
	v_pk_mov_b32 v[26:27], v[24:25], v[20:21] op_sel:[1,0]
	v_mul_f32_e32 v21, v51, v51
	v_pk_mul_f32 v[22:23], v[22:23], v[26:27]
	v_cmp_le_f32_e32 vcc, s5, v21
	v_add_f32_e32 v62, v23, v22
	v_max3_f32 v23, -v62, v62, s5
	v_cndmask_b32_e32 v22, 0, v51, vcc
	v_pk_mul_f32 v[42:43], v[22:23], v[22:23]
	s_nop 0
	v_add_f32_e32 v24, v42, v43
	v_mul_f32_e32 v21, 0x4f800000, v24
	v_cmp_gt_f32_e32 vcc, s4, v24
	s_nop 1
	v_cndmask_b32_e32 v26, v24, v21, vcc
	v_sqrt_f32_e32 v42, v26
	v_mul_f32_e32 v21, v60, v59
	v_add_u32_e32 v43, -1, v42
	v_fma_f32 v57, -v43, v42, v26
	v_cmp_ge_f32_e64 s[0:1], 0, v57
	v_add_u32_e32 v57, 1, v42
	s_nop 0
	v_cndmask_b32_e64 v43, v42, v43, s[0:1]
	v_fma_f32 v42, -v57, v42, v26
	v_cmp_lt_f32_e64 s[0:1], 0, v42
	s_nop 1
	v_cndmask_b32_e64 v42, v43, v57, s[0:1]
	v_mul_f32_e32 v43, 0x37800000, v42
	v_cndmask_b32_e32 v42, v42, v43, vcc
	v_cmp_class_f32_e32 vcc, v26, v48
	v_mov_b32_e32 v43, v25
	s_nop 0
	v_cndmask_b32_e32 v26, v42, v26, vcc
	v_div_scale_f32 v57, s[0:1], v26, v26, 1.0
	v_rcp_f32_e32 v59, v57
	v_mov_b32_e32 v42, v20
	v_fma_f32 v60, -v57, v59, 1.0
	v_fmac_f32_e32 v59, v60, v59
	v_div_scale_f32 v60, vcc, 1.0, v26, 1.0
	v_mul_f32_e32 v63, v60, v59
	v_fma_f32 v64, -v57, v63, v60
	v_fmac_f32_e32 v63, v64, v59
	v_fma_f32 v57, -v57, v63, v60
	v_div_fmas_f32 v57, v57, v59, v63
	v_div_fixup_f32 v26, v57, v26, 1.0
	v_mul_f32_e32 v57, 0.5, v26
	v_mul_f32_e32 v57, v26, v57
	v_mul_f32_e32 v57, v26, v57
	v_fmac_f32_e32 v26, 0.5, v26
	v_fma_f32 v26, -v24, v57, v26
	v_fmac_f32_e32 v23, v24, v26
	v_cmp_le_f32_e32 vcc, 0, v62
	v_mul_f32_e32 v64, v55, v25
	v_fmac_f32_e32 v64, v61, v20
	v_cndmask_b32_e32 v57, v23, v22, vcc
	v_cndmask_b32_e32 v24, v22, v23, vcc
	v_mul_f32_e32 v26, v57, v57
	v_fmac_f32_e32 v26, v24, v24
	v_mul_f32_e32 v22, 0x4f800000, v26
	v_cmp_gt_f32_e32 vcc, s4, v26
	s_nop 1
	v_cndmask_b32_e32 v59, v26, v22, vcc
	v_sqrt_f32_e32 v60, v59
	v_pk_mul_f32 v[22:23], v[42:43], v[18:19]
	s_nop 0
	v_sub_f32_e32 v63, v22, v23
	v_add_u32_e32 v23, -1, v60
	v_fma_f32 v42, -v23, v60, v59
	v_cmp_ge_f32_e64 s[0:1], 0, v42
	v_add_u32_e32 v42, 1, v60
	v_fma_f32 v43, -v42, v60, v59
	v_cndmask_b32_e64 v23, v60, v23, s[0:1]
	v_cmp_lt_f32_e64 s[0:1], 0, v43
	v_mul_f32_e32 v22, v61, v25
	v_fma_f32 v55, v55, v20, -v22
	v_cndmask_b32_e64 v23, v23, v42, s[0:1]
	v_mul_f32_e32 v42, 0x37800000, v23
	v_cndmask_b32_e32 v23, v23, v42, vcc
	v_cmp_class_f32_e32 vcc, v59, v48
	v_xor_b32_e32 v42, v56, v52
	s_nop 0
	v_cndmask_b32_e32 v43, v23, v59, vcc
	v_div_scale_f32 v59, s[0:1], v43, v43, 1.0
	v_rcp_f32_e32 v60, v59
	v_div_scale_f32 v61, vcc, 1.0, v43, 1.0
	v_fma_f32 v22, -v59, v60, 1.0
	v_fmac_f32_e32 v60, v22, v60
	v_mul_f32_e32 v65, v61, v60
	v_fma_f32 v22, -v59, v65, v61
	v_fmac_f32_e32 v65, v22, v60
	v_fma_f32 v52, -v59, v65, v61
	v_div_fmas_f32 v52, v52, v60, v65
	v_div_fixup_f32 v43, v52, v43, 1.0
	v_mul_f32_e32 v52, 0.5, v43
	v_mul_f32_e32 v52, v43, v52
	v_mul_f32_e32 v52, v43, v52
	v_fmac_f32_e32 v43, 0.5, v43
	v_fma_f32 v43, -v26, v52, v43
	v_mul_f32_e32 v26, v24, v43
	v_mul_f32_e32 v24, v57, v43
	v_mov_b32_e32 v57, v19
	v_mov_b32_e32 v19, v18
	;; [unrolled: 1-line block ×4, first 2 shown]
	v_pk_mul_f32 v[18:19], v[24:25], v[18:19]
	v_mul_f32_e32 v59, 0, v25
	v_fma_f32 v60, 0, v25, v20
	v_fma_f32 v61, v20, 0, -v25
	v_fma_f32 v52, 0, v20, v25
	v_fmamk_f32 v65, v25, 0x80000000, v20
	v_mul_f32_e32 v43, v24, v26
	v_pk_fma_f32 v[24:25], v[26:27], v[56:57], v[18:19] neg_lo:[0,0,1] neg_hi:[0,0,1]
	v_pk_fma_f32 v[18:19], v[26:27], v[56:57], v[18:19]
	v_add_f32_e32 v43, v43, v43
	v_mov_b32_e32 v25, v19
	v_pk_mul_f32 v[18:19], v[24:25], v[42:43]
	v_fma_f32 v42, 0, v20, v59
	v_sub_f32_e32 v56, v18, v19
	v_mul_f32_e32 v18, v56, v56
	v_cmp_le_f32_e32 vcc, s5, v18
	v_max3_f32 v19, -v63, v63, s5
	v_fma_f32 v20, v20, 0, -v59
	v_cndmask_b32_e32 v18, 0, v56, vcc
	v_mul_f32_e32 v25, v18, v18
	v_fmac_f32_e32 v25, v19, v19
	v_mul_f32_e32 v26, 0x4f800000, v25
	v_cmp_gt_f32_e32 vcc, s4, v25
	v_mul_f32_e32 v57, v62, v24
	v_fmac_f32_e32 v57, v51, v43
	v_cndmask_b32_e32 v26, v25, v26, vcc
	v_sqrt_f32_e32 v27, v26
	v_mul_f32_e32 v51, v64, v43
	v_fma_f32 v51, v58, v24, -v51
	v_fma_f32 v68, v42, v24, v43
	v_add_u32_e32 v59, -1, v27
	v_fma_f32 v62, -v59, v27, v26
	v_cmp_ge_f32_e64 s[0:1], 0, v62
	v_add_u32_e32 v62, 1, v27
	v_fma_f32 v69, -v42, v43, v24
	v_cndmask_b32_e64 v59, v27, v59, s[0:1]
	v_fma_f32 v27, -v62, v27, v26
	v_cmp_lt_f32_e64 s[0:1], 0, v27
	v_add_u32_e32 v22, s8, v38
	v_ashrrev_i32_e32 v23, 31, v22
	v_cndmask_b32_e64 v27, v59, v62, s[0:1]
	v_mul_f32_e32 v59, 0x37800000, v27
	v_cndmask_b32_e32 v27, v27, v59, vcc
	v_cmp_class_f32_e32 vcc, v26, v48
	v_lshl_add_u64 v[38:39], v[38:39], 2, s[6:7]
	s_nop 0
	v_cndmask_b32_e32 v26, v27, v26, vcc
	v_div_scale_f32 v27, s[0:1], v26, v26, 1.0
	v_rcp_f32_e32 v59, v27
	s_nop 0
	v_fma_f32 v58, -v27, v59, 1.0
	v_fmac_f32_e32 v59, v58, v59
	v_div_scale_f32 v58, vcc, 1.0, v26, 1.0
	v_mul_f32_e32 v62, v58, v59
	v_fma_f32 v64, -v27, v62, v58
	v_fmac_f32_e32 v62, v64, v59
	v_fma_f32 v27, -v27, v62, v58
	v_div_fmas_f32 v27, v27, v59, v62
	v_div_fixup_f32 v26, v27, v26, 1.0
	v_mul_f32_e32 v27, 0.5, v26
	v_mul_f32_e32 v27, v26, v27
	v_mul_f32_e32 v27, v26, v27
	v_fmac_f32_e32 v26, 0.5, v26
	v_fma_f32 v26, -v25, v27, v26
	v_fmac_f32_e32 v19, v25, v26
	v_cmp_le_f32_e32 vcc, 0, v63
	v_mul_f32_e32 v64, 0, v43
	v_mul_f32_e32 v58, 0, v24
	v_cndmask_b32_e32 v66, v19, v18, vcc
	v_cndmask_b32_e32 v62, v18, v19, vcc
	v_mul_f32_e32 v67, v66, v66
	v_fmac_f32_e32 v67, v62, v62
	v_mul_f32_e32 v18, 0x4f800000, v67
	v_cmp_gt_f32_e32 vcc, s4, v67
	v_fma_f32 v59, v60, v24, v64
	v_fmac_f32_e32 v64, v52, v24
	v_cndmask_b32_e32 v19, v67, v18, vcc
	v_sqrt_f32_e32 v18, v19
	v_fma_f32 v52, -v52, v43, v58
	v_add_u32_e32 v24, -1, v18
	v_fma_f32 v25, -v24, v18, v19
	v_cmp_ge_f32_e64 s[0:1], 0, v25
	v_add_u32_e32 v25, 1, v18
	s_nop 0
	v_cndmask_b32_e64 v24, v18, v24, s[0:1]
	v_fma_f32 v18, -v25, v18, v19
	v_cmp_lt_f32_e64 s[0:1], 0, v18
	s_nop 1
	v_cndmask_b32_e64 v18, v24, v25, s[0:1]
	v_mul_f32_e32 v24, 0x37800000, v18
	v_cndmask_b32_e32 v24, v18, v24, vcc
	v_cmp_class_f32_e32 vcc, v19, v48
	v_fma_f32 v48, -v60, v43, v58
	v_add_u32_e32 v18, s8, v22
	v_cndmask_b32_e32 v42, v24, v19, vcc
	v_div_scale_f32 v24, s[0:1], v42, v42, 1.0
	v_rcp_f32_e32 v26, v24
	v_ashrrev_i32_e32 v19, 31, v18
	v_lshl_add_u64 v[22:23], v[22:23], 2, s[6:7]
	v_fma_f32 v25, -v24, v26, 1.0
	v_fmac_f32_e32 v26, v25, v26
	v_div_scale_f32 v25, vcc, 1.0, v42, 1.0
	v_mul_f32_e32 v27, v25, v26
	v_fma_f32 v43, -v24, v27, v25
	v_fmac_f32_e32 v27, v43, v26
	v_fma_f32 v43, -v24, v27, v25
	v_div_fmas_f32 v43, v43, v26, v27
	v_div_fixup_f32 v42, v43, v42, 1.0
	v_mul_f32_e32 v43, 0.5, v42
	v_mul_f32_e32 v43, v42, v43
	v_mul_f32_e32 v43, v42, v43
	v_fmac_f32_e32 v42, 0.5, v42
	v_fma_f32 v58, -v67, v43, v42
	v_mul_f32_e32 v60, v62, v58
	v_mul_f32_e32 v58, v66, v58
	;; [unrolled: 1-line block ×4, first 2 shown]
	v_add_f32_e32 v58, v58, v58
	v_add_u32_e32 v24, s8, v18
	v_fma_f32 v62, v60, v60, -v62
	v_mul_f32_e32 v55, v55, v58
	v_add_u32_e32 v26, s8, v24
	v_fma_f32 v51, v51, v62, -v55
	v_mul_f32_e32 v55, v61, v58
	v_add_u32_e32 v42, s8, v26
	v_mul_f32_e32 v60, v48, v58
	v_fma_f32 v48, v48, v62, -v55
	v_mul_f32_e32 v55, v65, v58
	v_ashrrev_i32_e32 v25, 31, v24
	v_ashrrev_i32_e32 v27, 31, v26
	;; [unrolled: 1-line block ×3, first 2 shown]
	v_mul_f32_e32 v56, v56, v58
	v_fmac_f32_e32 v60, v61, v62
	v_mul_f32_e32 v61, v52, v58
	v_fma_f32 v52, v52, v62, -v55
	v_mul_f32_e32 v55, v20, v58
	v_mul_f32_e32 v58, v69, v58
	v_lshl_add_u64 v[18:19], v[18:19], 2, s[6:7]
	v_lshl_add_u64 v[24:25], v[24:25], 2, s[6:7]
	;; [unrolled: 1-line block ×4, first 2 shown]
	v_fmac_f32_e32 v56, v63, v62
	v_fmac_f32_e32 v61, v65, v62
	;; [unrolled: 1-line block ×3, first 2 shown]
	v_fma_f32 v20, v69, v62, -v55
	global_store_dword v[40:41], v46, off
	global_store_dword v[28:29], v47, off
	;; [unrolled: 1-line block ×21, first 2 shown]
.LBB0_4:
	s_endpgm
	.section	.rodata,"a",@progbits
	.p2align	6, 0x0
	.amdhsa_kernel _Z8svd3_SOAPKfPfi
		.amdhsa_group_segment_fixed_size 0
		.amdhsa_private_segment_fixed_size 0
		.amdhsa_kernarg_size 280
		.amdhsa_user_sgpr_count 2
		.amdhsa_user_sgpr_dispatch_ptr 0
		.amdhsa_user_sgpr_queue_ptr 0
		.amdhsa_user_sgpr_kernarg_segment_ptr 1
		.amdhsa_user_sgpr_dispatch_id 0
		.amdhsa_user_sgpr_kernarg_preload_length 0
		.amdhsa_user_sgpr_kernarg_preload_offset 0
		.amdhsa_user_sgpr_private_segment_size 0
		.amdhsa_uses_dynamic_stack 0
		.amdhsa_enable_private_segment 0
		.amdhsa_system_sgpr_workgroup_id_x 1
		.amdhsa_system_sgpr_workgroup_id_y 0
		.amdhsa_system_sgpr_workgroup_id_z 0
		.amdhsa_system_sgpr_workgroup_info 0
		.amdhsa_system_vgpr_workitem_id 0
		.amdhsa_next_free_vgpr 72
		.amdhsa_next_free_sgpr 10
		.amdhsa_accum_offset 72
		.amdhsa_reserve_vcc 1
		.amdhsa_float_round_mode_32 0
		.amdhsa_float_round_mode_16_64 0
		.amdhsa_float_denorm_mode_32 3
		.amdhsa_float_denorm_mode_16_64 3
		.amdhsa_dx10_clamp 1
		.amdhsa_ieee_mode 1
		.amdhsa_fp16_overflow 0
		.amdhsa_tg_split 0
		.amdhsa_exception_fp_ieee_invalid_op 0
		.amdhsa_exception_fp_denorm_src 0
		.amdhsa_exception_fp_ieee_div_zero 0
		.amdhsa_exception_fp_ieee_overflow 0
		.amdhsa_exception_fp_ieee_underflow 0
		.amdhsa_exception_fp_ieee_inexact 0
		.amdhsa_exception_int_div_zero 0
	.end_amdhsa_kernel
	.text
.Lfunc_end0:
	.size	_Z8svd3_SOAPKfPfi, .Lfunc_end0-_Z8svd3_SOAPKfPfi
                                        ; -- End function
	.set _Z8svd3_SOAPKfPfi.num_vgpr, 72
	.set _Z8svd3_SOAPKfPfi.num_agpr, 0
	.set _Z8svd3_SOAPKfPfi.numbered_sgpr, 10
	.set _Z8svd3_SOAPKfPfi.num_named_barrier, 0
	.set _Z8svd3_SOAPKfPfi.private_seg_size, 0
	.set _Z8svd3_SOAPKfPfi.uses_vcc, 1
	.set _Z8svd3_SOAPKfPfi.uses_flat_scratch, 0
	.set _Z8svd3_SOAPKfPfi.has_dyn_sized_stack, 0
	.set _Z8svd3_SOAPKfPfi.has_recursion, 0
	.set _Z8svd3_SOAPKfPfi.has_indirect_call, 0
	.section	.AMDGPU.csdata,"",@progbits
; Kernel info:
; codeLenInByte = 5620
; TotalNumSgprs: 16
; NumVgprs: 72
; NumAgprs: 0
; TotalNumVgprs: 72
; ScratchSize: 0
; MemoryBound: 0
; FloatMode: 240
; IeeeMode: 1
; LDSByteSize: 0 bytes/workgroup (compile time only)
; SGPRBlocks: 1
; VGPRBlocks: 8
; NumSGPRsForWavesPerEU: 16
; NumVGPRsForWavesPerEU: 72
; AccumOffset: 72
; Occupancy: 7
; WaveLimiterHint : 0
; COMPUTE_PGM_RSRC2:SCRATCH_EN: 0
; COMPUTE_PGM_RSRC2:USER_SGPR: 2
; COMPUTE_PGM_RSRC2:TRAP_HANDLER: 0
; COMPUTE_PGM_RSRC2:TGID_X_EN: 1
; COMPUTE_PGM_RSRC2:TGID_Y_EN: 0
; COMPUTE_PGM_RSRC2:TGID_Z_EN: 0
; COMPUTE_PGM_RSRC2:TIDIG_COMP_CNT: 0
; COMPUTE_PGM_RSRC3_GFX90A:ACCUM_OFFSET: 17
; COMPUTE_PGM_RSRC3_GFX90A:TG_SPLIT: 0
	.text
	.p2alignl 6, 3212836864
	.fill 256, 4, 3212836864
	.section	.AMDGPU.gpr_maximums,"",@progbits
	.set amdgpu.max_num_vgpr, 0
	.set amdgpu.max_num_agpr, 0
	.set amdgpu.max_num_sgpr, 0
	.text
	.type	__hip_cuid_25200932c584c0d4,@object ; @__hip_cuid_25200932c584c0d4
	.section	.bss,"aw",@nobits
	.globl	__hip_cuid_25200932c584c0d4
__hip_cuid_25200932c584c0d4:
	.byte	0                               ; 0x0
	.size	__hip_cuid_25200932c584c0d4, 1

	.ident	"AMD clang version 22.0.0git (https://github.com/RadeonOpenCompute/llvm-project roc-7.2.4 26084 f58b06dce1f9c15707c5f808fd002e18c2accf7e)"
	.section	".note.GNU-stack","",@progbits
	.addrsig
	.addrsig_sym __hip_cuid_25200932c584c0d4
	.amdgpu_metadata
---
amdhsa.kernels:
  - .agpr_count:     0
    .args:
      - .actual_access:  read_only
        .address_space:  global
        .offset:         0
        .size:           8
        .value_kind:     global_buffer
      - .actual_access:  write_only
        .address_space:  global
        .offset:         8
        .size:           8
        .value_kind:     global_buffer
      - .offset:         16
        .size:           4
        .value_kind:     by_value
      - .offset:         24
        .size:           4
        .value_kind:     hidden_block_count_x
      - .offset:         28
        .size:           4
        .value_kind:     hidden_block_count_y
      - .offset:         32
        .size:           4
        .value_kind:     hidden_block_count_z
      - .offset:         36
        .size:           2
        .value_kind:     hidden_group_size_x
      - .offset:         38
        .size:           2
        .value_kind:     hidden_group_size_y
      - .offset:         40
        .size:           2
        .value_kind:     hidden_group_size_z
      - .offset:         42
        .size:           2
        .value_kind:     hidden_remainder_x
      - .offset:         44
        .size:           2
        .value_kind:     hidden_remainder_y
      - .offset:         46
        .size:           2
        .value_kind:     hidden_remainder_z
      - .offset:         64
        .size:           8
        .value_kind:     hidden_global_offset_x
      - .offset:         72
        .size:           8
        .value_kind:     hidden_global_offset_y
      - .offset:         80
        .size:           8
        .value_kind:     hidden_global_offset_z
      - .offset:         88
        .size:           2
        .value_kind:     hidden_grid_dims
    .group_segment_fixed_size: 0
    .kernarg_segment_align: 8
    .kernarg_segment_size: 280
    .language:       OpenCL C
    .language_version:
      - 2
      - 0
    .max_flat_workgroup_size: 1024
    .name:           _Z8svd3_SOAPKfPfi
    .private_segment_fixed_size: 0
    .sgpr_count:     16
    .sgpr_spill_count: 0
    .symbol:         _Z8svd3_SOAPKfPfi.kd
    .uniform_work_group_size: 1
    .uses_dynamic_stack: false
    .vgpr_count:     72
    .vgpr_spill_count: 0
    .wavefront_size: 64
amdhsa.target:   amdgcn-amd-amdhsa--gfx950
amdhsa.version:
  - 1
  - 2
...

	.end_amdgpu_metadata
